;; amdgpu-corpus repo=ROCm/rocFFT kind=compiled arch=gfx906 opt=O3
	.text
	.amdgcn_target "amdgcn-amd-amdhsa--gfx906"
	.amdhsa_code_object_version 6
	.protected	fft_rtc_back_len216_factors_6_4_3_3_wgs_252_tpt_18_dim2_sp_ip_CI_sbcc_twdbase8_2step_dirReg ; -- Begin function fft_rtc_back_len216_factors_6_4_3_3_wgs_252_tpt_18_dim2_sp_ip_CI_sbcc_twdbase8_2step_dirReg
	.globl	fft_rtc_back_len216_factors_6_4_3_3_wgs_252_tpt_18_dim2_sp_ip_CI_sbcc_twdbase8_2step_dirReg
	.p2align	8
	.type	fft_rtc_back_len216_factors_6_4_3_3_wgs_252_tpt_18_dim2_sp_ip_CI_sbcc_twdbase8_2step_dirReg,@function
fft_rtc_back_len216_factors_6_4_3_3_wgs_252_tpt_18_dim2_sp_ip_CI_sbcc_twdbase8_2step_dirReg: ; @fft_rtc_back_len216_factors_6_4_3_3_wgs_252_tpt_18_dim2_sp_ip_CI_sbcc_twdbase8_2step_dirReg
; %bb.0:
	s_load_dwordx4 s[0:3], s[4:5], 0x10
	s_mov_b32 s7, 0
	s_mov_b64 s[20:21], -1
	s_waitcnt lgkmcnt(0)
	s_load_dwordx2 s[18:19], s[0:1], 0x8
	s_load_dwordx2 s[14:15], s[4:5], 0x50
	;; [unrolled: 1-line block ×3, first 2 shown]
	s_waitcnt lgkmcnt(0)
	s_add_u32 s0, s18, -1
	s_addc_u32 s1, s19, -1
	s_add_u32 s8, 0, 0x49240800
	s_addc_u32 s9, 0, 50
	s_add_i32 s9, s9, 0x12492460
	s_mul_hi_u32 s17, s8, -14
	s_sub_i32 s17, s17, s8
	s_mul_i32 s22, s9, -14
	s_mul_i32 s10, s8, -14
	s_add_i32 s17, s17, s22
	s_mul_hi_u32 s11, s9, s10
	s_mul_i32 s16, s9, s10
	s_mul_i32 s23, s8, s17
	s_mul_hi_u32 s10, s8, s10
	s_mul_hi_u32 s22, s8, s17
	s_add_u32 s10, s10, s23
	s_addc_u32 s22, 0, s22
	s_add_u32 s10, s10, s16
	s_mul_hi_u32 s23, s9, s17
	s_addc_u32 s10, s22, s11
	s_addc_u32 s11, s23, 0
	s_mul_i32 s16, s9, s17
	s_add_u32 s10, s10, s16
	v_mov_b32_e32 v1, s10
	s_addc_u32 s11, 0, s11
	v_add_co_u32_e32 v1, vcc, s8, v1
	s_cmp_lg_u64 vcc, 0
	s_addc_u32 s8, s9, s11
	v_readfirstlane_b32 s11, v1
	s_mul_i32 s10, s0, s8
	s_mul_hi_u32 s16, s0, s11
	s_mul_hi_u32 s9, s0, s8
	s_add_u32 s10, s16, s10
	s_addc_u32 s9, 0, s9
	s_mul_hi_u32 s17, s1, s11
	s_mul_i32 s11, s1, s11
	s_add_u32 s10, s10, s11
	s_mul_hi_u32 s16, s1, s8
	s_addc_u32 s9, s9, s17
	s_addc_u32 s10, s16, 0
	s_mul_i32 s8, s1, s8
	s_add_u32 s8, s9, s8
	s_addc_u32 s9, 0, s10
	s_add_u32 s10, s8, 1
	s_addc_u32 s11, s9, 0
	s_add_u32 s16, s8, 2
	s_mul_i32 s22, s9, 14
	s_mul_hi_u32 s23, s8, 14
	s_addc_u32 s17, s9, 0
	s_add_i32 s23, s23, s22
	s_mul_i32 s22, s8, 14
	v_mov_b32_e32 v1, s22
	v_sub_co_u32_e32 v1, vcc, s0, v1
	s_cmp_lg_u64 vcc, 0
	s_subb_u32 s0, s1, s23
	v_subrev_co_u32_e32 v2, vcc, 14, v1
	s_cmp_lg_u64 vcc, 0
	s_subb_u32 s1, s0, 0
	v_readfirstlane_b32 s22, v2
	s_cmp_gt_u32 s22, 13
	s_cselect_b32 s22, -1, 0
	s_cmp_eq_u32 s1, 0
	s_cselect_b32 s1, s22, -1
	s_cmp_lg_u32 s1, 0
	s_cselect_b32 s1, s16, s10
	s_cselect_b32 s10, s17, s11
	v_readfirstlane_b32 s11, v1
	s_cmp_gt_u32 s11, 13
	s_cselect_b32 s11, -1, 0
	s_cmp_eq_u32 s0, 0
	s_cselect_b32 s0, s11, -1
	s_cmp_lg_u32 s0, 0
	s_cselect_b32 s0, s1, s8
	s_cselect_b32 s9, s10, s9
	s_add_u32 s0, s0, 1
	s_addc_u32 s1, s9, 0
	v_mov_b32_e32 v2, s1
	v_mov_b32_e32 v1, s0
	v_cmp_lt_u64_e32 vcc, s[6:7], v[1:2]
	s_mov_b64 s[22:23], 0
	s_cbranch_vccnz .LBB0_2
; %bb.1:
	v_cvt_f32_u32_e32 v1, s0
	s_sub_i32 s7, 0, s0
	v_rcp_iflag_f32_e32 v1, v1
	v_mul_f32_e32 v1, 0x4f7ffffe, v1
	v_cvt_u32_f32_e32 v1, v1
	v_readfirstlane_b32 s8, v1
	s_mul_i32 s7, s7, s8
	s_mul_hi_u32 s7, s8, s7
	s_add_i32 s8, s8, s7
	s_mul_hi_u32 s7, s6, s8
	s_mul_i32 s9, s7, s0
	s_sub_i32 s9, s6, s9
	s_add_i32 s8, s7, 1
	s_sub_i32 s10, s9, s0
	s_cmp_ge_u32 s9, s0
	s_cselect_b32 s7, s8, s7
	s_cselect_b32 s9, s10, s9
	s_add_i32 s8, s7, 1
	s_cmp_ge_u32 s9, s0
	s_cselect_b32 s22, s8, s7
.LBB0_2:
	s_mul_i32 s1, s22, s1
	s_mul_hi_u32 s7, s22, s0
	s_load_dwordx4 s[8:11], s[2:3], 0x8
	s_add_i32 s7, s7, s1
	s_mul_i32 s0, s22, s0
	s_sub_u32 s0, s6, s0
	s_subb_u32 s1, 0, s7
	s_mul_i32 s1, s1, 14
	s_mul_hi_u32 s2, s0, 14
	s_mul_i32 s0, s0, 14
	s_add_i32 s1, s2, s1
	s_waitcnt lgkmcnt(0)
	s_mul_i32 s3, s0, s9
	s_mul_hi_u32 s6, s0, s8
	s_mul_i32 s2, s1, s8
	s_add_i32 s3, s6, s3
	s_mul_i32 s6, s11, s22
	s_mul_hi_u32 s7, s10, s22
	v_mul_u32_u24_e32 v1, 0x124a, v0
	s_add_i32 s3, s3, s2
	s_mul_i32 s2, s0, s8
	s_add_i32 s7, s7, s6
	s_mul_i32 s6, s10, s22
	v_lshrrev_b32_e32 v30, 16, v1
	s_add_u32 s2, s6, s2
	v_mul_lo_u16_e32 v1, 14, v30
	s_addc_u32 s3, s7, s3
	v_sub_u16_e32 v28, v0, v1
	s_load_dwordx2 s[16:17], s[4:5], 0x0
	v_mov_b32_e32 v2, s1
	v_add_co_u32_e32 v1, vcc, s0, v28
	s_add_u32 s0, s0, 14
	v_mov_b32_e32 v3, s18
	v_addc_co_u32_e32 v2, vcc, 0, v2, vcc
	s_addc_u32 s1, s1, 0
	v_mov_b32_e32 v4, s19
	v_cmp_gt_u64_e32 vcc, s[0:1], v[3:4]
	v_cmp_le_u64_e64 s[0:1], s[0:1], v[3:4]
	s_cbranch_vccz .LBB0_8
; %bb.3:
	v_cmp_le_u64_e32 vcc, s[18:19], v[1:2]
                                        ; implicit-def: $vgpr31
                                        ; implicit-def: $vgpr29
                                        ; implicit-def: $vgpr27
	s_and_saveexec_b64 s[6:7], vcc
	s_xor_b64 s[6:7], exec, s[6:7]
; %bb.4:
	v_add_u32_e32 v31, 18, v30
	v_add_u32_e32 v29, 54, v30
	;; [unrolled: 1-line block ×3, first 2 shown]
; %bb.5:
	s_or_saveexec_b64 s[6:7], s[6:7]
                                        ; implicit-def: $vgpr9
                                        ; implicit-def: $vgpr5
                                        ; implicit-def: $vgpr17
                                        ; implicit-def: $vgpr21
                                        ; implicit-def: $vgpr15
                                        ; implicit-def: $vgpr23
                                        ; implicit-def: $vgpr3
                                        ; implicit-def: $vgpr19
                                        ; implicit-def: $vgpr25
                                        ; implicit-def: $vgpr13
                                        ; implicit-def: $vgpr11
                                        ; implicit-def: $vgpr7
	s_xor_b64 exec, exec, s[6:7]
	s_cbranch_execz .LBB0_7
; %bb.6:
	v_mad_u64_u32 v[3:4], s[10:11], s8, v28, 0
	v_mad_u64_u32 v[5:6], s[10:11], s12, v30, 0
	v_add_u32_e32 v27, 36, v30
	v_add_u32_e32 v11, 0x48, v30
	v_mad_u64_u32 v[7:8], s[10:11], s9, v28, v[4:5]
	v_mov_b32_e32 v4, v6
	v_mad_u64_u32 v[8:9], s[10:11], s13, v30, v[4:5]
	s_lshl_b64 s[10:11], s[2:3], 3
	s_add_u32 s20, s14, s10
	s_addc_u32 s10, s15, s11
	v_mov_b32_e32 v4, v7
	v_mov_b32_e32 v6, v8
	;; [unrolled: 1-line block ×3, first 2 shown]
	v_mad_u64_u32 v[7:8], s[10:11], s12, v27, 0
	v_lshlrev_b64 v[3:4], 3, v[3:4]
	v_add_u32_e32 v13, 0x6c, v30
	v_add_co_u32_e32 v38, vcc, s20, v3
	v_addc_co_u32_e32 v39, vcc, v9, v4, vcc
	v_lshlrev_b64 v[3:4], 3, v[5:6]
	v_mov_b32_e32 v5, v8
	v_mad_u64_u32 v[5:6], s[10:11], s13, v27, v[5:6]
	v_mad_u64_u32 v[9:10], s[10:11], s12, v11, 0
	v_mov_b32_e32 v8, v5
	v_lshlrev_b64 v[5:6], 3, v[7:8]
	v_mov_b32_e32 v7, v10
	v_mad_u64_u32 v[7:8], s[10:11], s13, v11, v[7:8]
	v_mad_u64_u32 v[11:12], s[10:11], s12, v13, 0
	v_mov_b32_e32 v10, v7
	v_lshlrev_b64 v[7:8], 3, v[9:10]
	v_mov_b32_e32 v9, v12
	v_mad_u64_u32 v[9:10], s[10:11], s13, v13, v[9:10]
	v_add_co_u32_e32 v3, vcc, v38, v3
	v_addc_co_u32_e32 v4, vcc, v39, v4, vcc
	v_add_co_u32_e32 v5, vcc, v38, v5
	v_mov_b32_e32 v12, v9
	v_add_u32_e32 v9, 0x90, v30
	v_addc_co_u32_e32 v6, vcc, v39, v6, vcc
	v_mad_u64_u32 v[17:18], s[10:11], s12, v9, 0
	v_add_co_u32_e32 v15, vcc, v38, v7
	v_addc_co_u32_e32 v16, vcc, v39, v8, vcc
	v_lshlrev_b64 v[7:8], 3, v[11:12]
	v_add_u32_e32 v24, 0xb4, v30
	v_add_co_u32_e32 v19, vcc, v38, v7
	v_mov_b32_e32 v7, v18
	v_mad_u64_u32 v[21:22], s[10:11], s13, v9, v[7:8]
	v_mad_u64_u32 v[22:23], s[10:11], s12, v24, 0
	v_addc_co_u32_e32 v20, vcc, v39, v8, vcc
	global_load_dwordx2 v[7:8], v[3:4], off
	global_load_dwordx2 v[11:12], v[5:6], off
	;; [unrolled: 1-line block ×4, first 2 shown]
	v_mov_b32_e32 v5, v23
	v_add_u32_e32 v31, 18, v30
	v_mad_u64_u32 v[5:6], s[10:11], s13, v24, v[5:6]
	v_mad_u64_u32 v[15:16], s[10:11], s12, v31, 0
	v_mov_b32_e32 v23, v5
	v_add_u32_e32 v29, 54, v30
	v_mov_b32_e32 v5, v16
	v_mad_u64_u32 v[5:6], s[10:11], s13, v31, v[5:6]
	v_mad_u64_u32 v[19:20], s[10:11], s12, v29, 0
	v_mov_b32_e32 v18, v21
	v_lshlrev_b64 v[3:4], 3, v[17:18]
	v_mov_b32_e32 v16, v5
	v_mov_b32_e32 v5, v20
	v_add_co_u32_e32 v17, vcc, v38, v3
	v_mad_u64_u32 v[5:6], s[10:11], s13, v29, v[5:6]
	v_addc_co_u32_e32 v18, vcc, v39, v4, vcc
	v_lshlrev_b64 v[3:4], 3, v[22:23]
	v_mov_b32_e32 v20, v5
	v_add_co_u32_e32 v21, vcc, v38, v3
	v_addc_co_u32_e32 v22, vcc, v39, v4, vcc
	v_lshlrev_b64 v[3:4], 3, v[15:16]
	v_add_u32_e32 v5, 0x5a, v30
	v_mad_u64_u32 v[23:24], s[10:11], s12, v5, 0
	v_add_co_u32_e32 v15, vcc, v38, v3
	v_add_u32_e32 v36, 0x7e, v30
	v_addc_co_u32_e32 v16, vcc, v39, v4, vcc
	v_lshlrev_b64 v[3:4], 3, v[19:20]
	v_mad_u64_u32 v[34:35], s[10:11], s12, v36, 0
	v_add_co_u32_e32 v32, vcc, v38, v3
	v_mov_b32_e32 v3, v24
	v_mad_u64_u32 v[24:25], s[10:11], s13, v5, v[3:4]
	v_addc_co_u32_e32 v33, vcc, v39, v4, vcc
	global_load_dwordx2 v[25:26], v[17:18], off
	global_load_dwordx2 v[19:20], v[21:22], off
	global_load_dwordx2 v[3:4], v[15:16], off
	global_load_dwordx2 v[5:6], v[32:33], off
	v_mov_b32_e32 v17, v35
	v_mad_u64_u32 v[17:18], s[10:11], s13, v36, v[17:18]
	v_add_u32_e32 v18, 0xa2, v30
	v_mad_u64_u32 v[21:22], s[10:11], s12, v18, 0
	v_mov_b32_e32 v35, v17
	v_lshlrev_b64 v[15:16], 3, v[23:24]
	v_mov_b32_e32 v17, v22
	v_mad_u64_u32 v[17:18], s[10:11], s13, v18, v[17:18]
	v_add_u32_e32 v18, 0xc6, v30
	v_mad_u64_u32 v[23:24], s[10:11], s12, v18, 0
	v_add_co_u32_e32 v32, vcc, v38, v15
	v_addc_co_u32_e32 v33, vcc, v39, v16, vcc
	v_lshlrev_b64 v[15:16], 3, v[34:35]
	v_mov_b32_e32 v22, v17
	v_mov_b32_e32 v17, v24
	v_mad_u64_u32 v[17:18], s[10:11], s13, v18, v[17:18]
	v_add_co_u32_e32 v34, vcc, v38, v15
	v_addc_co_u32_e32 v35, vcc, v39, v16, vcc
	v_lshlrev_b64 v[15:16], 3, v[21:22]
	v_mov_b32_e32 v24, v17
	v_add_co_u32_e32 v36, vcc, v38, v15
	v_addc_co_u32_e32 v37, vcc, v39, v16, vcc
	v_lshlrev_b64 v[15:16], 3, v[23:24]
	v_add_co_u32_e32 v38, vcc, v38, v15
	v_addc_co_u32_e32 v39, vcc, v39, v16, vcc
	global_load_dwordx2 v[23:24], v[32:33], off
	global_load_dwordx2 v[15:16], v[34:35], off
	global_load_dwordx2 v[21:22], v[36:37], off
	global_load_dwordx2 v[17:18], v[38:39], off
.LBB0_7:
	s_or_b64 exec, exec, s[6:7]
	s_cbranch_execz .LBB0_9
	s_branch .LBB0_10
.LBB0_8:
                                        ; implicit-def: $vgpr9
                                        ; implicit-def: $vgpr5
                                        ; implicit-def: $vgpr17
                                        ; implicit-def: $vgpr21
                                        ; implicit-def: $vgpr15
                                        ; implicit-def: $vgpr23
                                        ; implicit-def: $vgpr3
                                        ; implicit-def: $vgpr19
                                        ; implicit-def: $vgpr25
                                        ; implicit-def: $vgpr31
                                        ; implicit-def: $vgpr29
                                        ; implicit-def: $vgpr27
                                        ; implicit-def: $vgpr13
                                        ; implicit-def: $vgpr11
                                        ; implicit-def: $vgpr7
	s_andn2_b64 vcc, exec, s[20:21]
	s_cbranch_vccnz .LBB0_10
.LBB0_9:
	s_waitcnt vmcnt(5)
	v_mad_u64_u32 v[3:4], s[6:7], s8, v28, 0
	s_waitcnt vmcnt(4)
	v_mad_u64_u32 v[5:6], s[6:7], s12, v30, 0
	v_add_u32_e32 v27, 36, v30
	v_add_u32_e32 v31, 18, v30
	v_mad_u64_u32 v[7:8], s[6:7], s9, v28, v[4:5]
	v_mov_b32_e32 v4, v6
	v_mad_u64_u32 v[8:9], s[6:7], s13, v30, v[4:5]
	s_lshl_b64 s[6:7], s[2:3], 3
	s_add_u32 s10, s14, s6
	s_addc_u32 s6, s15, s7
	v_mov_b32_e32 v4, v7
	v_mov_b32_e32 v6, v8
	;; [unrolled: 1-line block ×3, first 2 shown]
	v_mad_u64_u32 v[7:8], s[6:7], s12, v27, 0
	v_lshlrev_b64 v[3:4], 3, v[3:4]
	v_add_u32_e32 v29, 54, v30
	v_add_co_u32_e32 v48, vcc, s10, v3
	v_addc_co_u32_e32 v49, vcc, v9, v4, vcc
	v_lshlrev_b64 v[3:4], 3, v[5:6]
	v_mov_b32_e32 v5, v8
	v_mad_u64_u32 v[5:6], s[6:7], s13, v27, v[5:6]
	v_add_u32_e32 v6, 0x48, v30
	v_mad_u64_u32 v[9:10], s[6:7], s12, v6, 0
	s_waitcnt vmcnt(2)
	v_add_co_u32_e32 v15, vcc, v48, v3
	v_mov_b32_e32 v8, v5
	v_mov_b32_e32 v5, v10
	v_addc_co_u32_e32 v16, vcc, v49, v4, vcc
	v_lshlrev_b64 v[3:4], 3, v[7:8]
	v_mad_u64_u32 v[5:6], s[6:7], s13, v6, v[5:6]
	v_add_u32_e32 v8, 0x6c, v30
	v_mad_u64_u32 v[6:7], s[6:7], s12, v8, 0
	s_waitcnt vmcnt(0)
	v_add_co_u32_e32 v17, vcc, v48, v3
	v_mov_b32_e32 v10, v5
	v_mov_b32_e32 v5, v7
	v_addc_co_u32_e32 v18, vcc, v49, v4, vcc
	v_lshlrev_b64 v[3:4], 3, v[9:10]
	v_mad_u64_u32 v[7:8], s[6:7], s13, v8, v[5:6]
	v_add_u32_e32 v10, 0x90, v30
	v_mad_u64_u32 v[8:9], s[6:7], s12, v10, 0
	v_add_co_u32_e32 v21, vcc, v48, v3
	v_mov_b32_e32 v5, v9
	v_addc_co_u32_e32 v22, vcc, v49, v4, vcc
	v_lshlrev_b64 v[3:4], 3, v[6:7]
	v_mad_u64_u32 v[5:6], s[6:7], s13, v10, v[5:6]
	v_add_u32_e32 v10, 0xb4, v30
	v_mad_u64_u32 v[6:7], s[6:7], s12, v10, 0
	v_add_co_u32_e32 v23, vcc, v48, v3
	v_mov_b32_e32 v9, v5
	v_mov_b32_e32 v5, v7
	v_addc_co_u32_e32 v24, vcc, v49, v4, vcc
	v_lshlrev_b64 v[3:4], 3, v[8:9]
	v_mad_u64_u32 v[7:8], s[6:7], s13, v10, v[5:6]
	v_mad_u64_u32 v[8:9], s[6:7], s12, v31, 0
	v_add_co_u32_e32 v32, vcc, v48, v3
	v_mov_b32_e32 v5, v9
	v_addc_co_u32_e32 v33, vcc, v49, v4, vcc
	v_lshlrev_b64 v[3:4], 3, v[6:7]
	v_mad_u64_u32 v[5:6], s[6:7], s13, v31, v[5:6]
	v_mad_u64_u32 v[6:7], s[6:7], s12, v29, 0
	v_add_co_u32_e32 v34, vcc, v48, v3
	v_mov_b32_e32 v9, v5
	v_mov_b32_e32 v5, v7
	v_addc_co_u32_e32 v35, vcc, v49, v4, vcc
	v_lshlrev_b64 v[3:4], 3, v[8:9]
	v_mad_u64_u32 v[7:8], s[6:7], s13, v29, v[5:6]
	v_add_u32_e32 v10, 0x5a, v30
	v_mad_u64_u32 v[8:9], s[6:7], s12, v10, 0
	v_add_co_u32_e32 v36, vcc, v48, v3
	v_mov_b32_e32 v5, v9
	v_addc_co_u32_e32 v37, vcc, v49, v4, vcc
	v_lshlrev_b64 v[3:4], 3, v[6:7]
	v_mad_u64_u32 v[5:6], s[6:7], s13, v10, v[5:6]
	v_add_u32_e32 v10, 0x7e, v30
	v_mad_u64_u32 v[6:7], s[6:7], s12, v10, 0
	v_add_co_u32_e32 v38, vcc, v48, v3
	v_mov_b32_e32 v9, v5
	v_mov_b32_e32 v5, v7
	v_addc_co_u32_e32 v39, vcc, v49, v4, vcc
	v_lshlrev_b64 v[3:4], 3, v[8:9]
	v_mad_u64_u32 v[7:8], s[6:7], s13, v10, v[5:6]
	v_add_u32_e32 v10, 0xa2, v30
	v_mad_u64_u32 v[8:9], s[6:7], s12, v10, 0
	v_add_co_u32_e32 v40, vcc, v48, v3
	v_mov_b32_e32 v5, v9
	v_addc_co_u32_e32 v41, vcc, v49, v4, vcc
	v_lshlrev_b64 v[3:4], 3, v[6:7]
	v_mad_u64_u32 v[5:6], s[6:7], s13, v10, v[5:6]
	v_add_u32_e32 v6, 0xc6, v30
	v_mad_u64_u32 v[42:43], s[6:7], s12, v6, 0
	v_mov_b32_e32 v9, v5
	v_add_co_u32_e32 v44, vcc, v48, v3
	v_mov_b32_e32 v5, v43
	v_mad_u64_u32 v[5:6], s[6:7], s13, v6, v[5:6]
	v_addc_co_u32_e32 v45, vcc, v49, v4, vcc
	v_lshlrev_b64 v[3:4], 3, v[8:9]
	v_mov_b32_e32 v43, v5
	v_add_co_u32_e32 v46, vcc, v48, v3
	v_addc_co_u32_e32 v47, vcc, v49, v4, vcc
	global_load_dwordx2 v[7:8], v[15:16], off
	global_load_dwordx2 v[11:12], v[17:18], off
	;; [unrolled: 1-line block ×8, first 2 shown]
	v_lshlrev_b64 v[15:16], 3, v[42:43]
	v_add_co_u32_e32 v32, vcc, v48, v15
	v_addc_co_u32_e32 v33, vcc, v49, v16, vcc
	global_load_dwordx2 v[23:24], v[40:41], off
	global_load_dwordx2 v[15:16], v[44:45], off
	;; [unrolled: 1-line block ×4, first 2 shown]
.LBB0_10:
	s_waitcnt vmcnt(7)
	v_add_f32_e32 v33, v13, v25
	v_add_f32_e32 v32, v7, v13
	v_fmac_f32_e32 v7, -0.5, v33
	v_sub_f32_e32 v33, v14, v26
	v_mov_b32_e32 v34, v7
	v_fmac_f32_e32 v34, 0xbf5db3d7, v33
	v_fmac_f32_e32 v7, 0x3f5db3d7, v33
	v_add_f32_e32 v33, v8, v14
	v_add_f32_e32 v14, v14, v26
	v_fmac_f32_e32 v8, -0.5, v14
	v_add_f32_e32 v33, v33, v26
	v_sub_f32_e32 v13, v13, v25
	v_mov_b32_e32 v26, v8
	s_waitcnt vmcnt(6)
	v_add_f32_e32 v14, v19, v9
	v_fmac_f32_e32 v26, 0x3f5db3d7, v13
	v_fmac_f32_e32 v8, 0xbf5db3d7, v13
	v_add_f32_e32 v13, v11, v9
	v_fmac_f32_e32 v11, -0.5, v14
	v_add_f32_e32 v32, v32, v25
	v_sub_f32_e32 v14, v10, v20
	v_mov_b32_e32 v25, v11
	v_fmac_f32_e32 v25, 0xbf5db3d7, v14
	v_fmac_f32_e32 v11, 0x3f5db3d7, v14
	v_add_f32_e32 v14, v12, v10
	v_add_f32_e32 v10, v20, v10
	v_fmac_f32_e32 v12, -0.5, v10
	v_add_f32_e32 v13, v19, v13
	v_add_f32_e32 v14, v20, v14
	v_sub_f32_e32 v9, v9, v19
	v_mov_b32_e32 v20, v12
	v_fmac_f32_e32 v20, 0x3f5db3d7, v9
	v_fmac_f32_e32 v12, 0xbf5db3d7, v9
	v_add_f32_e32 v9, v32, v13
	v_sub_f32_e32 v13, v32, v13
	v_mul_f32_e32 v32, 0x3f5db3d7, v25
	v_mul_f32_e32 v35, 0xbf5db3d7, v20
	v_add_f32_e32 v10, v33, v14
	v_sub_f32_e32 v14, v33, v14
	v_fmac_f32_e32 v32, 0.5, v20
	s_waitcnt vmcnt(1)
	v_add_f32_e32 v33, v23, v21
	v_fmac_f32_e32 v35, 0.5, v25
	v_mul_f32_e32 v36, 0xbf5db3d7, v12
	v_mul_f32_e32 v37, -0.5, v12
	v_add_f32_e32 v12, v26, v32
	v_sub_f32_e32 v26, v26, v32
	v_add_f32_e32 v32, v3, v23
	v_fmac_f32_e32 v3, -0.5, v33
	v_fmac_f32_e32 v36, -0.5, v11
	v_fmac_f32_e32 v37, 0x3f5db3d7, v11
	v_add_f32_e32 v11, v34, v35
	v_sub_f32_e32 v25, v34, v35
	v_sub_f32_e32 v33, v24, v22
	v_mov_b32_e32 v34, v3
	v_fmac_f32_e32 v34, 0xbf5db3d7, v33
	v_fmac_f32_e32 v3, 0x3f5db3d7, v33
	v_add_f32_e32 v33, v4, v24
	v_add_f32_e32 v33, v33, v22
	v_add_f32_e32 v22, v24, v22
	v_fmac_f32_e32 v4, -0.5, v22
	v_add_f32_e32 v32, v32, v21
	v_sub_f32_e32 v21, v23, v21
	v_mov_b32_e32 v35, v4
	s_waitcnt vmcnt(0)
	v_add_f32_e32 v22, v15, v17
	v_fmac_f32_e32 v35, 0x3f5db3d7, v21
	v_fmac_f32_e32 v4, 0xbf5db3d7, v21
	v_add_f32_e32 v21, v15, v5
	v_fmac_f32_e32 v5, -0.5, v22
	v_sub_f32_e32 v22, v16, v18
	v_mov_b32_e32 v24, v5
	v_fmac_f32_e32 v24, 0xbf5db3d7, v22
	v_fmac_f32_e32 v5, 0x3f5db3d7, v22
	v_add_f32_e32 v22, v16, v6
	v_add_f32_e32 v16, v16, v18
	v_fmac_f32_e32 v6, -0.5, v16
	v_sub_f32_e32 v15, v15, v17
	v_add_f32_e32 v22, v18, v22
	v_mov_b32_e32 v18, v6
	v_fmac_f32_e32 v6, 0xbf5db3d7, v15
	v_add_f32_e32 v20, v8, v37
	v_sub_f32_e32 v8, v8, v37
	v_mul_f32_e32 v37, 0xbf5db3d7, v6
	v_mul_f32_e32 v6, -0.5, v6
	v_fmac_f32_e32 v18, 0x3f5db3d7, v15
	v_fmac_f32_e32 v37, -0.5, v5
	v_fmac_f32_e32 v6, 0x3f5db3d7, v5
	v_mul_f32_e32 v5, 0x3f5db3d7, v24
	v_add_f32_e32 v19, v7, v36
	v_sub_f32_e32 v7, v7, v36
	v_mul_f32_e32 v36, 0xbf5db3d7, v18
	v_fmac_f32_e32 v5, 0.5, v18
	v_add_f32_e32 v21, v17, v21
	v_fmac_f32_e32 v36, 0.5, v24
	v_add_f32_e32 v16, v33, v22
	v_sub_f32_e32 v22, v33, v22
	v_add_f32_e32 v18, v35, v5
	v_add_f32_e32 v24, v4, v6
	v_sub_f32_e32 v33, v35, v5
	v_sub_f32_e32 v4, v4, v6
	v_mul_u32_u24_e32 v6, 0x2a0, v30
	v_lshlrev_b32_e32 v5, 3, v28
	v_add_f32_e32 v15, v32, v21
	v_add_f32_e32 v17, v34, v36
	v_sub_f32_e32 v21, v32, v21
	v_sub_f32_e32 v32, v34, v36
	v_add3_u32 v34, 0, v6, v5
	v_mul_i32_i24_e32 v6, 0x2a0, v31
	v_add_f32_e32 v23, v3, v37
	v_sub_f32_e32 v3, v3, v37
	ds_write2_b64 v34, v[9:10], v[11:12] offset1:14
	ds_write2_b64 v34, v[19:20], v[13:14] offset0:28 offset1:42
	ds_write2_b64 v34, v[25:26], v[7:8] offset0:56 offset1:70
	v_add3_u32 v7, 0, v6, v5
	ds_write2_b64 v7, v[15:16], v[17:18] offset1:14
	ds_write2_b64 v7, v[23:24], v[21:22] offset0:28 offset1:42
	ds_write2_b64 v7, v[32:33], v[3:4] offset0:56 offset1:70
	v_mul_lo_u16_e32 v26, 43, v30
	v_mov_b32_e32 v3, 6
	v_mul_lo_u16_sdwa v3, v26, v3 dst_sel:DWORD dst_unused:UNUSED_PAD src0_sel:BYTE_1 src1_sel:DWORD
	v_sub_u16_e32 v46, v30, v3
	v_mov_b32_e32 v6, 3
	v_mul_u32_u24_sdwa v3, v46, v6 dst_sel:DWORD dst_unused:UNUSED_PAD src0_sel:BYTE_0 src1_sel:DWORD
	v_lshlrev_b32_e32 v3, 3, v3
	s_waitcnt lgkmcnt(0)
	s_barrier
	global_load_dwordx4 v[12:15], v3, s[16:17]
	s_movk_i32 s6, 0xab
	v_mul_lo_u16_sdwa v47, v31, s6 dst_sel:DWORD dst_unused:UNUSED_PAD src0_sel:BYTE_0 src1_sel:DWORD
	v_lshrrev_b16_e32 v48, 10, v47
	v_mul_lo_u16_e32 v4, 6, v48
	v_sub_u16_e32 v49, v31, v4
	v_mul_u32_u24_sdwa v4, v49, v6 dst_sel:DWORD dst_unused:UNUSED_PAD src0_sel:BYTE_0 src1_sel:DWORD
	v_lshlrev_b32_e32 v4, 3, v4
	global_load_dwordx4 v[16:19], v4, s[16:17]
	v_mul_lo_u16_sdwa v50, v27, s6 dst_sel:DWORD dst_unused:UNUSED_PAD src0_sel:BYTE_0 src1_sel:DWORD
	v_lshrrev_b16_e32 v51, 10, v50
	v_mul_lo_u16_e32 v8, 6, v51
	v_sub_u16_e32 v52, v27, v8
	v_mul_u32_u24_sdwa v8, v52, v6 dst_sel:DWORD dst_unused:UNUSED_PAD src0_sel:BYTE_0 src1_sel:DWORD
	v_lshlrev_b32_e32 v8, 3, v8
	global_load_dwordx4 v[20:23], v8, s[16:17]
	global_load_dwordx2 v[24:25], v3, s[16:17] offset:16
	global_load_dwordx2 v[36:37], v4, s[16:17] offset:16
	;; [unrolled: 1-line block ×3, first 2 shown]
	v_mul_i32_i24_e32 v3, 0x70, v29
	v_add3_u32 v4, 0, v3, v5
	s_movk_i32 s7, 0xfdd0
	v_mad_i32_i24 v3, v30, s7, v34
	v_mad_i32_i24 v9, v31, s7, v7
	ds_read_b64 v[7:8], v4
	v_add_u32_e32 v11, 0x2f40, v3
	ds_read2_b64 v[32:35], v11 offset1:252
	v_mul_i32_i24_e32 v10, 0x70, v27
	v_add3_u32 v10, 0, v10, v5
	ds_read_b64 v[40:41], v9
	ds_read_b64 v[42:43], v10
	;; [unrolled: 1-line block ×3, first 2 shown]
	v_cmp_gt_u64_e32 vcc, s[18:19], v[1:2]
	s_or_b64 s[0:1], s[0:1], vcc
	s_waitcnt vmcnt(5) lgkmcnt(4)
	v_mul_f32_e32 v53, v13, v8
	v_fmac_f32_e32 v53, v12, v7
	v_mul_f32_e32 v7, v13, v7
	v_fma_f32 v54, v12, v8, -v7
	s_waitcnt lgkmcnt(3)
	v_mul_f32_e32 v55, v15, v33
	v_mul_f32_e32 v7, v15, v32
	v_fmac_f32_e32 v55, v14, v32
	v_fma_f32 v32, v14, v33, -v7
	v_add_u32_e32 v7, 0x1f80, v3
	ds_read2_b64 v[12:15], v7 offset1:252
	s_waitcnt vmcnt(4)
	v_mul_f32_e32 v33, v35, v19
	v_mul_f32_e32 v8, v34, v19
	v_fmac_f32_e32 v33, v34, v18
	v_fma_f32 v34, v35, v18, -v8
	s_waitcnt lgkmcnt(0)
	v_mul_f32_e32 v8, v17, v12
	v_mul_f32_e32 v35, v17, v13
	v_fma_f32 v56, v16, v13, -v8
	v_add_u32_e32 v8, 0x3f00, v3
	v_fmac_f32_e32 v35, v16, v12
	ds_read2_b64 v[16:19], v8 offset1:252
	s_waitcnt vmcnt(3)
	v_mul_f32_e32 v12, v14, v21
	v_mul_f32_e32 v57, v15, v21
	v_fma_f32 v21, v15, v20, -v12
	v_fmac_f32_e32 v57, v14, v20
	s_waitcnt lgkmcnt(0)
	v_mul_f32_e32 v58, v17, v23
	v_mul_f32_e32 v12, v16, v23
	v_fmac_f32_e32 v58, v16, v22
	v_fma_f32 v22, v17, v22, -v12
	v_add_u32_e32 v12, 0x4ec0, v3
	ds_read2_b64 v[13:16], v12 offset1:252
	s_waitcnt vmcnt(2)
	v_mul_f32_e32 v17, v25, v19
	v_fmac_f32_e32 v17, v24, v18
	v_mul_f32_e32 v18, v25, v18
	v_fma_f32 v18, v24, v19, -v18
	s_waitcnt vmcnt(1) lgkmcnt(0)
	v_mul_f32_e32 v23, v14, v37
	v_fmac_f32_e32 v23, v13, v36
	v_mul_f32_e32 v13, v13, v37
	v_fma_f32 v24, v14, v36, -v13
	s_waitcnt vmcnt(0)
	v_mul_f32_e32 v13, v15, v39
	v_sub_f32_e32 v20, v45, v32
	v_sub_f32_e32 v32, v53, v17
	v_fma_f32 v36, v16, v38, -v13
	v_sub_f32_e32 v17, v54, v18
	v_fma_f32 v13, v53, 2.0, -v32
	v_sub_f32_e32 v18, v20, v32
	v_mov_b32_e32 v32, 24
	v_mul_f32_e32 v25, v16, v39
	v_sub_f32_e32 v19, v44, v55
	v_mul_u32_u24_sdwa v26, v26, v32 dst_sel:DWORD dst_unused:UNUSED_PAD src0_sel:BYTE_1 src1_sel:DWORD
	v_fmac_f32_e32 v25, v15, v38
	v_fma_f32 v15, v44, 2.0, -v19
	v_fma_f32 v16, v45, 2.0, -v20
	;; [unrolled: 1-line block ×3, first 2 shown]
	v_or_b32_sdwa v26, v26, v46 dst_sel:DWORD dst_unused:UNUSED_PAD src0_sel:DWORD src1_sel:BYTE_0
	v_sub_f32_e32 v13, v15, v13
	v_sub_f32_e32 v14, v16, v14
	v_add_f32_e32 v17, v19, v17
	v_mul_u32_u24_e32 v26, 0x70, v26
	v_fma_f32 v15, v15, 2.0, -v13
	v_fma_f32 v16, v16, 2.0, -v14
	v_fma_f32 v19, v19, 2.0, -v17
	v_fma_f32 v20, v20, 2.0, -v18
	v_add3_u32 v26, 0, v26, v5
	s_barrier
	ds_write2_b64 v26, v[15:16], v[19:20] offset1:84
	ds_write2_b64 v26, v[13:14], v[17:18] offset0:168 offset1:252
	v_sub_f32_e32 v18, v35, v23
	v_mul_u32_u24_e32 v23, 24, v48
	v_sub_f32_e32 v19, v40, v33
	v_sub_f32_e32 v20, v41, v34
	;; [unrolled: 1-line block ×3, first 2 shown]
	v_or_b32_sdwa v23, v23, v49 dst_sel:DWORD dst_unused:UNUSED_PAD src0_sel:DWORD src1_sel:BYTE_0
	v_fma_f32 v15, v40, 2.0, -v19
	v_fma_f32 v16, v41, 2.0, -v20
	;; [unrolled: 1-line block ×4, first 2 shown]
	v_mul_u32_u24_e32 v23, 0x70, v23
	v_sub_f32_e32 v13, v15, v13
	v_sub_f32_e32 v14, v16, v14
	v_add_f32_e32 v17, v19, v17
	v_sub_f32_e32 v18, v20, v18
	v_add3_u32 v26, 0, v23, v5
	v_fma_f32 v15, v15, 2.0, -v13
	v_fma_f32 v16, v16, 2.0, -v14
	;; [unrolled: 1-line block ×4, first 2 shown]
	v_sub_f32_e32 v23, v42, v58
	v_sub_f32_e32 v24, v43, v22
	;; [unrolled: 1-line block ×4, first 2 shown]
	ds_write2_b64 v26, v[13:14], v[17:18] offset0:168 offset1:252
	v_mul_u32_u24_e32 v13, 24, v51
	ds_write2_b64 v26, v[15:16], v[19:20] offset1:84
	v_fma_f32 v19, v42, 2.0, -v23
	v_fma_f32 v20, v43, 2.0, -v24
	;; [unrolled: 1-line block ×4, first 2 shown]
	v_or_b32_sdwa v13, v13, v52 dst_sel:DWORD dst_unused:UNUSED_PAD src0_sel:DWORD src1_sel:BYTE_0
	v_sub_f32_e32 v15, v19, v15
	v_sub_f32_e32 v16, v20, v16
	v_add_f32_e32 v21, v23, v25
	v_sub_f32_e32 v22, v24, v22
	v_mul_u32_u24_e32 v13, 0x70, v13
	v_fma_f32 v19, v19, 2.0, -v15
	v_fma_f32 v20, v20, 2.0, -v16
	;; [unrolled: 1-line block ×4, first 2 shown]
	v_add3_u32 v13, 0, v13, v5
	ds_write2_b64 v13, v[19:20], v[23:24] offset1:84
	ds_write2_b64 v13, v[15:16], v[21:22] offset0:168 offset1:252
	v_mul_lo_u16_e32 v13, 11, v30
	v_lshrrev_b16_e32 v25, 8, v13
	v_mul_lo_u16_e32 v13, 24, v25
	v_sub_u16_e32 v13, v30, v13
	v_lshrrev_b16_e32 v44, 12, v47
	v_and_b32_e32 v26, 0xff, v13
	v_mul_lo_u16_e32 v17, 24, v44
	v_lshlrev_b32_e32 v13, 4, v26
	v_sub_u16_e32 v17, v31, v17
	s_waitcnt lgkmcnt(0)
	s_barrier
	global_load_dwordx4 v[13:16], v13, s[16:17] offset:144
	v_and_b32_e32 v45, 0xff, v17
	v_lshlrev_b32_e32 v17, 4, v45
	global_load_dwordx4 v[17:20], v17, s[16:17] offset:144
	v_lshrrev_b16_e32 v46, 12, v50
	v_mul_lo_u16_e32 v21, 24, v46
	v_sub_u16_e32 v21, v27, v21
	v_mul_lo_u16_sdwa v32, v29, s6 dst_sel:DWORD dst_unused:UNUSED_PAD src0_sel:BYTE_0 src1_sel:DWORD
	v_and_b32_e32 v47, 0xff, v21
	v_lshrrev_b16_e32 v48, 12, v32
	v_lshlrev_b32_e32 v21, 4, v47
	v_mul_lo_u16_e32 v32, 24, v48
	global_load_dwordx4 v[21:24], v21, s[16:17] offset:144
	v_sub_u16_e32 v32, v29, v32
	v_and_b32_e32 v49, 0xff, v32
	v_lshlrev_b32_e32 v32, 4, v49
	global_load_dwordx4 v[32:35], v32, s[16:17] offset:144
	ds_read2_b64 v[36:39], v7 offset1:252
	ds_read2_b64 v[40:43], v8 offset1:252
	s_movk_i32 s6, 0x48
	v_mad_u32_u24 v25, v25, s6, v26
	v_mul_u32_u24_e32 v25, 0x70, v25
	v_add3_u32 v25, 0, v25, v5
	s_waitcnt vmcnt(3) lgkmcnt(1)
	v_mul_f32_e32 v50, v14, v37
	v_mul_f32_e32 v14, v14, v36
	v_fmac_f32_e32 v50, v13, v36
	v_fma_f32 v36, v13, v37, -v14
	s_waitcnt lgkmcnt(0)
	v_mul_f32_e32 v37, v16, v41
	v_mul_f32_e32 v13, v16, v40
	v_fmac_f32_e32 v37, v15, v40
	v_fma_f32 v40, v15, v41, -v13
	s_waitcnt vmcnt(2)
	v_mul_f32_e32 v41, v18, v39
	v_mul_f32_e32 v13, v18, v38
	v_fmac_f32_e32 v41, v17, v38
	v_fma_f32 v38, v17, v39, -v13
	ds_read2_b64 v[13:16], v11 offset1:252
	v_mul_f32_e32 v39, v20, v43
	v_mul_f32_e32 v17, v20, v42
	v_fmac_f32_e32 v39, v19, v42
	v_fma_f32 v42, v19, v43, -v17
	ds_read2_b64 v[17:20], v12 offset1:252
	s_waitcnt vmcnt(1) lgkmcnt(1)
	v_mul_f32_e32 v43, v22, v14
	v_fmac_f32_e32 v43, v21, v13
	v_mul_f32_e32 v13, v22, v13
	v_fma_f32 v51, v21, v14, -v13
	s_waitcnt lgkmcnt(0)
	v_mul_f32_e32 v52, v18, v24
	v_mul_f32_e32 v13, v17, v24
	v_fmac_f32_e32 v52, v17, v23
	v_fma_f32 v23, v18, v23, -v13
	s_waitcnt vmcnt(0)
	v_mul_f32_e32 v24, v16, v33
	v_mul_f32_e32 v13, v15, v33
	v_fmac_f32_e32 v24, v15, v32
	v_fma_f32 v32, v16, v32, -v13
	ds_read_b64 v[13:14], v3
	v_mul_f32_e32 v33, v20, v35
	v_mul_f32_e32 v15, v19, v35
	v_fmac_f32_e32 v33, v19, v34
	v_fma_f32 v34, v20, v34, -v15
	s_waitcnt lgkmcnt(0)
	v_add_f32_e32 v21, v13, v50
	v_add_f32_e32 v22, v14, v36
	;; [unrolled: 1-line block ×4, first 2 shown]
	ds_read_b64 v[15:16], v4
	ds_read_b64 v[17:18], v10
	;; [unrolled: 1-line block ×3, first 2 shown]
	s_waitcnt lgkmcnt(0)
	s_barrier
	ds_write_b64 v25, v[21:22]
	v_add_f32_e32 v21, v50, v37
	v_fma_f32 v13, -0.5, v21, v13
	v_add_f32_e32 v21, v36, v40
	v_fmac_f32_e32 v14, -0.5, v21
	v_sub_f32_e32 v26, v36, v40
	v_sub_f32_e32 v35, v50, v37
	v_mov_b32_e32 v21, v13
	v_mov_b32_e32 v22, v14
	v_fmac_f32_e32 v21, 0xbf5db3d7, v26
	v_fmac_f32_e32 v22, 0x3f5db3d7, v35
	ds_write_b64 v25, v[21:22] offset:2688
	v_fmac_f32_e32 v13, 0x3f5db3d7, v26
	v_fmac_f32_e32 v14, 0xbf5db3d7, v35
	v_mad_u32_u24 v21, v44, s6, v45
	ds_write_b64 v25, v[13:14] offset:5376
	v_add_f32_e32 v13, v19, v41
	v_add_f32_e32 v14, v20, v38
	v_mul_u32_u24_e32 v21, 0x70, v21
	v_add_f32_e32 v13, v13, v39
	v_add_f32_e32 v14, v14, v42
	v_add3_u32 v35, 0, v21, v5
	ds_write_b64 v35, v[13:14]
	v_add_f32_e32 v13, v41, v39
	v_fma_f32 v19, -0.5, v13, v19
	v_add_f32_e32 v13, v38, v42
	v_fmac_f32_e32 v20, -0.5, v13
	v_sub_f32_e32 v21, v38, v42
	v_sub_f32_e32 v22, v41, v39
	v_mov_b32_e32 v13, v19
	v_mov_b32_e32 v14, v20
	v_fmac_f32_e32 v13, 0xbf5db3d7, v21
	v_fmac_f32_e32 v14, 0x3f5db3d7, v22
	ds_write_b64 v35, v[13:14] offset:2688
	v_add_f32_e32 v13, v43, v52
	v_add_f32_e32 v14, v17, v43
	v_fma_f32 v17, -0.5, v13, v17
	v_fmac_f32_e32 v19, 0x3f5db3d7, v21
	v_sub_f32_e32 v21, v51, v23
	v_mov_b32_e32 v13, v17
	v_fmac_f32_e32 v13, 0xbf5db3d7, v21
	v_fmac_f32_e32 v17, 0x3f5db3d7, v21
	v_add_f32_e32 v21, v14, v52
	v_add_f32_e32 v14, v18, v51
	v_fmac_f32_e32 v20, 0xbf5db3d7, v22
	v_add_f32_e32 v22, v14, v23
	v_add_f32_e32 v14, v51, v23
	v_fmac_f32_e32 v18, -0.5, v14
	v_sub_f32_e32 v23, v43, v52
	v_mov_b32_e32 v14, v18
	v_fmac_f32_e32 v14, 0x3f5db3d7, v23
	v_fmac_f32_e32 v18, 0xbf5db3d7, v23
	v_add_f32_e32 v23, v24, v33
	ds_write_b64 v35, v[19:20] offset:5376
	v_mad_u32_u24 v19, v46, s6, v47
	v_add_f32_e32 v25, v15, v24
	v_fma_f32 v15, -0.5, v23, v15
	v_mul_u32_u24_e32 v19, 0x70, v19
	v_sub_f32_e32 v26, v32, v34
	v_mov_b32_e32 v23, v15
	v_add3_u32 v19, 0, v19, v5
	v_fmac_f32_e32 v23, 0xbf5db3d7, v26
	v_fmac_f32_e32 v15, 0x3f5db3d7, v26
	v_add_f32_e32 v26, v16, v32
	v_add_f32_e32 v32, v32, v34
	ds_write_b64 v19, v[21:22]
	ds_write_b64 v19, v[13:14] offset:2688
	ds_write_b64 v19, v[17:18] offset:5376
	v_mad_u32_u24 v13, v48, s6, v49
	v_fmac_f32_e32 v16, -0.5, v32
	v_mul_u32_u24_e32 v13, 0x70, v13
	v_add_f32_e32 v25, v25, v33
	v_add_f32_e32 v26, v26, v34
	v_sub_f32_e32 v32, v24, v33
	v_mov_b32_e32 v24, v16
	v_add3_u32 v5, 0, v13, v5
	v_fmac_f32_e32 v24, 0x3f5db3d7, v32
	v_fmac_f32_e32 v16, 0xbf5db3d7, v32
	ds_write_b64 v5, v[25:26]
	ds_write_b64 v5, v[23:24] offset:2688
	ds_write_b64 v5, v[15:16] offset:5376
	s_waitcnt lgkmcnt(0)
	s_barrier
	s_and_saveexec_b64 s[6:7], s[0:1]
	s_cbranch_execz .LBB0_12
; %bb.11:
	s_movk_i32 s0, 0xfc
	v_subrev_u32_e32 v2, 18, v30
	v_cmp_gt_u32_e32 vcc, s0, v0
	v_cndmask_b32_e32 v2, v2, v29, vcc
	v_lshlrev_b32_e32 v25, 1, v2
	v_mov_b32_e32 v26, 0
	v_lshlrev_b64 v[13:14], 3, v[25:26]
	v_mov_b32_e32 v54, s17
	v_add_co_u32_e32 v13, vcc, s16, v13
	v_addc_co_u32_e32 v14, vcc, v54, v14, vcc
	global_load_dwordx4 v[13:16], v[13:14], off offset:528
	v_add_u32_e32 v5, 0x90, v2
	v_mul_lo_u32 v5, v1, v5
	s_load_dwordx2 s[0:1], s[4:5], 0x8
	v_add_u32_e32 v18, 0x48, v2
	v_mul_lo_u32 v18, v1, v18
	v_lshlrev_b32_sdwa v17, v6, v5 dst_sel:DWORD dst_unused:UNUSED_PAD src0_sel:DWORD src1_sel:BYTE_0
	v_lshlrev_b32_sdwa v5, v6, v5 dst_sel:DWORD dst_unused:UNUSED_PAD src0_sel:DWORD src1_sel:BYTE_1
	s_waitcnt lgkmcnt(0)
	global_load_dwordx2 v[36:37], v17, s[0:1]
	global_load_dwordx2 v[38:39], v5, s[0:1] offset:2048
	v_lshlrev_b32_sdwa v5, v6, v18 dst_sel:DWORD dst_unused:UNUSED_PAD src0_sel:DWORD src1_sel:BYTE_0
	v_mul_lo_u32 v2, v1, v2
	v_lshlrev_b32_sdwa v17, v6, v18 dst_sel:DWORD dst_unused:UNUSED_PAD src0_sel:DWORD src1_sel:BYTE_1
	global_load_dwordx2 v[40:41], v5, s[0:1]
	global_load_dwordx2 v[42:43], v17, s[0:1] offset:2048
	s_movk_i32 s4, 0x1f8
	v_lshlrev_b32_sdwa v5, v6, v2 dst_sel:DWORD dst_unused:UNUSED_PAD src0_sel:DWORD src1_sel:BYTE_0
	v_lshlrev_b32_sdwa v2, v6, v2 dst_sel:DWORD dst_unused:UNUSED_PAD src0_sel:DWORD src1_sel:BYTE_1
	global_load_dwordx2 v[44:45], v5, s[0:1]
	global_load_dwordx2 v[46:47], v2, s[0:1] offset:2048
	v_subrev_u32_e32 v2, 36, v30
	v_cmp_gt_u32_e32 vcc, s4, v0
	v_cndmask_b32_e32 v55, v2, v27, vcc
	v_lshlrev_b32_e32 v25, 1, v55
	ds_read2_b64 v[17:20], v11 offset1:252
	ds_read2_b64 v[21:24], v12 offset1:252
	v_lshlrev_b64 v[11:12], 3, v[25:26]
	v_add_u32_e32 v2, 0x90, v55
	v_add_co_u32_e32 v11, vcc, s16, v11
	v_addc_co_u32_e32 v12, vcc, v54, v12, vcc
	global_load_dwordx4 v[32:35], v[11:12], off offset:528
	v_mul_lo_u32 v2, v1, v2
	ds_read_b64 v[48:49], v10
	ds_read_b64 v[50:51], v9
	ds_read_b64 v[9:10], v4
	ds_read_b64 v[52:53], v3
	v_add_u32_e32 v3, 0x48, v55
	v_mul_lo_u32 v11, v1, v3
	v_lshlrev_b32_sdwa v3, v6, v2 dst_sel:DWORD dst_unused:UNUSED_PAD src0_sel:DWORD src1_sel:BYTE_0
	v_lshlrev_b32_sdwa v2, v6, v2 dst_sel:DWORD dst_unused:UNUSED_PAD src0_sel:DWORD src1_sel:BYTE_1
	s_movk_i32 s4, 0x2f4
	v_lshlrev_b32_sdwa v57, v6, v11 dst_sel:DWORD dst_unused:UNUSED_PAD src0_sel:DWORD src1_sel:BYTE_0
	v_cmp_gt_u32_e32 vcc, s4, v0
	s_movk_i32 s4, 0x3f0
	s_waitcnt vmcnt(7) lgkmcnt(5)
	v_mul_f32_e32 v4, v19, v14
	s_waitcnt lgkmcnt(4)
	v_mul_f32_e32 v5, v23, v16
	v_mul_f32_e32 v12, v20, v14
	;; [unrolled: 1-line block ×3, first 2 shown]
	v_fma_f32 v4, v20, v13, -v4
	v_fma_f32 v56, v24, v15, -v5
	v_fmac_f32_e32 v12, v19, v13
	v_fmac_f32_e32 v25, v23, v15
	global_load_dwordx2 v[13:14], v3, s[0:1]
	global_load_dwordx2 v[15:16], v2, s[0:1] offset:2048
	s_waitcnt vmcnt(7)
	v_mul_f32_e32 v3, v37, v39
	v_add_f32_e32 v2, v4, v56
	v_mul_f32_e32 v19, v36, v39
	v_fma_f32 v20, v36, v38, -v3
	v_add_f32_e32 v36, v12, v25
	v_fmac_f32_e32 v19, v37, v38
	v_sub_f32_e32 v3, v12, v25
	v_sub_f32_e32 v5, v4, v56
	s_waitcnt vmcnt(5)
	v_mul_f32_e32 v24, v40, v43
	s_waitcnt lgkmcnt(1)
	v_add_f32_e32 v37, v10, v4
	v_fma_f32 v2, -0.5, v2, v10
	v_fma_f32 v10, -0.5, v36, v9
	v_mul_f32_e32 v23, v41, v43
	v_fmac_f32_e32 v24, v41, v42
	v_mov_b32_e32 v36, v2
	v_mov_b32_e32 v38, v10
	v_fmac_f32_e32 v2, 0x3f5db3d7, v3
	v_fmac_f32_e32 v10, 0xbf5db3d7, v5
	v_fma_f32 v23, v40, v42, -v23
	v_fmac_f32_e32 v36, 0xbf5db3d7, v3
	v_fmac_f32_e32 v38, 0x3f5db3d7, v5
	v_mul_f32_e32 v3, v10, v24
	v_mul_f32_e32 v4, v2, v24
	;; [unrolled: 1-line block ×3, first 2 shown]
	v_fma_f32 v5, v2, v23, -v3
	v_mul_f32_e32 v2, v36, v19
	v_fmac_f32_e32 v4, v10, v23
	v_lshlrev_b32_sdwa v10, v6, v11 dst_sel:DWORD dst_unused:UNUSED_PAD src0_sel:DWORD src1_sel:BYTE_1
	v_fma_f32 v3, v36, v20, -v24
	v_fmac_f32_e32 v2, v38, v20
	global_load_dwordx2 v[19:20], v57, s[0:1]
	global_load_dwordx2 v[23:24], v10, s[0:1] offset:2048
	s_waitcnt vmcnt(5)
	v_mul_f32_e32 v10, v45, v47
	v_add_f32_e32 v40, v37, v56
	v_fma_f32 v56, v44, v46, -v10
	v_mul_lo_u32 v10, v1, v55
	v_add_f32_e32 v9, v9, v12
	v_add_f32_e32 v55, v9, v25
	v_mul_f32_e32 v42, v44, v47
	v_lshlrev_b32_sdwa v9, v6, v10 dst_sel:DWORD dst_unused:UNUSED_PAD src0_sel:DWORD src1_sel:BYTE_0
	v_lshlrev_b32_sdwa v10, v6, v10 dst_sel:DWORD dst_unused:UNUSED_PAD src0_sel:DWORD src1_sel:BYTE_1
	global_load_dwordx2 v[36:37], v9, s[0:1]
	global_load_dwordx2 v[38:39], v10, s[0:1] offset:2048
	v_subrev_u32_e32 v9, 54, v30
	v_fmac_f32_e32 v42, v45, v46
	v_cndmask_b32_e32 v46, v9, v31, vcc
	v_lshlrev_b32_e32 v25, 1, v46
	v_lshlrev_b64 v[9:10], 3, v[25:26]
	v_mul_f32_e32 v25, v55, v42
	v_add_co_u32_e32 v9, vcc, s16, v9
	v_fma_f32 v41, v40, v56, -v25
	v_mul_f32_e32 v40, v40, v42
	v_add_u32_e32 v42, 0x90, v46
	v_addc_co_u32_e32 v10, vcc, v54, v10, vcc
	v_mul_lo_u32 v42, v1, v42
	global_load_dwordx4 v[9:12], v[9:10], off offset:528
	s_waitcnt vmcnt(7)
	v_mul_f32_e32 v25, v33, v17
	v_fma_f32 v25, v32, v18, -v25
	v_mul_f32_e32 v18, v33, v18
	v_fmac_f32_e32 v18, v32, v17
	v_lshlrev_b32_sdwa v17, v6, v42 dst_sel:DWORD dst_unused:UNUSED_PAD src0_sel:DWORD src1_sel:BYTE_0
	v_lshlrev_b32_sdwa v44, v6, v42 dst_sel:DWORD dst_unused:UNUSED_PAD src0_sel:DWORD src1_sel:BYTE_1
	global_load_dwordx2 v[32:33], v17, s[0:1]
	global_load_dwordx2 v[42:43], v44, s[0:1] offset:2048
	v_mul_f32_e32 v17, v21, v35
	v_fmac_f32_e32 v40, v55, v56
	v_fma_f32 v17, v22, v34, -v17
	v_mul_f32_e32 v55, v22, v35
	v_fmac_f32_e32 v55, v21, v34
	v_add_f32_e32 v44, v25, v17
	v_fma_f32 v47, -0.5, v44, v49
	v_sub_f32_e32 v58, v25, v17
	v_sub_f32_e32 v56, v18, v55
	v_mov_b32_e32 v21, v47
	v_fmac_f32_e32 v21, 0xbf5db3d7, v56
	v_fmac_f32_e32 v47, 0x3f5db3d7, v56
	v_cmp_gt_u32_e32 vcc, s4, v0
	s_waitcnt vmcnt(7)
	v_mul_f32_e32 v22, v14, v16
	v_fma_f32 v57, v13, v15, -v22
	v_mul_f32_e32 v13, v13, v16
	v_add_f32_e32 v22, v18, v55
	v_fmac_f32_e32 v13, v14, v15
	v_add_u32_e32 v14, 0x48, v46
	v_fma_f32 v59, -0.5, v22, v48
	v_mul_lo_u32 v14, v1, v14
	v_mov_b32_e32 v60, v59
	v_fmac_f32_e32 v60, 0x3f5db3d7, v58
	v_mul_f32_e32 v15, v60, v13
	v_fma_f32 v22, v21, v57, -v15
	v_mul_f32_e32 v21, v21, v13
	v_lshlrev_b32_sdwa v13, v6, v14 dst_sel:DWORD dst_unused:UNUSED_PAD src0_sel:DWORD src1_sel:BYTE_0
	v_lshlrev_b32_sdwa v14, v6, v14 dst_sel:DWORD dst_unused:UNUSED_PAD src0_sel:DWORD src1_sel:BYTE_1
	global_load_dwordx2 v[34:35], v13, s[0:1]
	global_load_dwordx2 v[44:45], v14, s[0:1] offset:2048
	v_fmac_f32_e32 v59, 0xbf5db3d7, v58
	v_fmac_f32_e32 v21, v60, v57
	s_waitcnt vmcnt(7)
	v_mul_f32_e32 v14, v19, v24
	v_mul_f32_e32 v13, v20, v24
	v_fmac_f32_e32 v14, v20, v23
	v_fma_f32 v13, v19, v23, -v13
	v_mul_f32_e32 v15, v59, v14
	v_mul_f32_e32 v23, v47, v14
	v_fma_f32 v24, v47, v13, -v15
	v_fmac_f32_e32 v23, v59, v13
	v_add_f32_e32 v13, v49, v25
	v_add_f32_e32 v25, v13, v17
	s_waitcnt vmcnt(5)
	v_mul_f32_e32 v13, v37, v39
	v_fma_f32 v47, v36, v38, -v13
	v_add_f32_e32 v13, v48, v18
	v_mul_f32_e32 v36, v36, v39
	v_add_f32_e32 v48, v13, v55
	v_fmac_f32_e32 v36, v37, v38
	v_mul_f32_e32 v17, v48, v36
	ds_read2_b64 v[13:16], v7 offset1:252
	v_fma_f32 v37, v25, v47, -v17
	ds_read2_b64 v[17:20], v8 offset1:252
	v_mul_f32_e32 v36, v25, v36
	v_fmac_f32_e32 v36, v48, v47
	s_waitcnt vmcnt(4) lgkmcnt(1)
	v_mul_f32_e32 v7, v10, v15
	v_fma_f32 v48, v9, v16, -v7
	s_waitcnt lgkmcnt(0)
	v_mul_f32_e32 v7, v12, v19
	v_fma_f32 v49, v11, v20, -v7
	v_add_f32_e32 v7, v48, v49
	v_mul_f32_e32 v55, v10, v16
	v_mul_f32_e32 v56, v12, v20
	v_fma_f32 v47, -0.5, v7, v51
	v_fmac_f32_e32 v55, v9, v15
	v_fmac_f32_e32 v56, v11, v19
	s_waitcnt vmcnt(2)
	v_mul_f32_e32 v7, v33, v43
	v_fma_f32 v39, v32, v42, -v7
	v_add_f32_e32 v7, v55, v56
	v_fma_f32 v58, -0.5, v7, v50
	v_mul_lo_u32 v7, v1, v46
	v_sub_f32_e32 v57, v48, v49
	v_mov_b32_e32 v59, v58
	v_mul_f32_e32 v32, v32, v43
	v_lshlrev_b32_sdwa v8, v6, v7 dst_sel:DWORD dst_unused:UNUSED_PAD src0_sel:DWORD src1_sel:BYTE_0
	v_lshlrev_b32_sdwa v7, v6, v7 dst_sel:DWORD dst_unused:UNUSED_PAD src0_sel:DWORD src1_sel:BYTE_1
	global_load_dwordx2 v[11:12], v8, s[0:1]
	global_load_dwordx2 v[15:16], v7, s[0:1] offset:2048
	v_add_u32_e32 v7, 0xffffffb8, v30
	v_cndmask_b32_e32 v30, v7, v30, vcc
	v_lshlrev_b32_e32 v25, 1, v30
	v_lshlrev_b64 v[7:8], 3, v[25:26]
	v_add_u32_e32 v26, 0x90, v30
	v_mul_lo_u32 v26, v1, v26
	v_add_co_u32_e32 v7, vcc, s16, v7
	v_addc_co_u32_e32 v8, vcc, v54, v8, vcc
	v_sub_f32_e32 v38, v55, v56
	v_mov_b32_e32 v19, v47
	v_fmac_f32_e32 v59, 0x3f5db3d7, v57
	v_fmac_f32_e32 v32, v33, v42
	global_load_dwordx4 v[7:10], v[7:8], off offset:528
	v_fmac_f32_e32 v19, 0xbf5db3d7, v38
	v_mul_f32_e32 v20, v59, v32
	v_fma_f32 v20, v19, v39, -v20
	s_waitcnt vmcnt(3)
	v_mul_f32_e32 v25, v35, v45
	v_fma_f32 v54, v34, v44, -v25
	v_mul_f32_e32 v42, v34, v45
	v_lshlrev_b32_sdwa v34, v6, v26 dst_sel:DWORD dst_unused:UNUSED_PAD src0_sel:DWORD src1_sel:BYTE_0
	v_mul_f32_e32 v19, v19, v32
	v_fmac_f32_e32 v42, v35, v44
	v_lshlrev_b32_sdwa v35, v6, v26 dst_sel:DWORD dst_unused:UNUSED_PAD src0_sel:DWORD src1_sel:BYTE_1
	global_load_dwordx2 v[25:26], v34, s[0:1]
	global_load_dwordx2 v[32:33], v35, s[0:1] offset:2048
	v_add_u32_e32 v34, 0x48, v30
	v_mul_lo_u32 v34, v1, v34
	v_mul_lo_u32 v1, v1, v30
	v_fmac_f32_e32 v19, v59, v39
	v_fmac_f32_e32 v47, 0x3f5db3d7, v38
	v_lshlrev_b32_sdwa v43, v6, v34 dst_sel:DWORD dst_unused:UNUSED_PAD src0_sel:DWORD src1_sel:BYTE_0
	v_lshlrev_b32_sdwa v44, v6, v34 dst_sel:DWORD dst_unused:UNUSED_PAD src0_sel:DWORD src1_sel:BYTE_1
	global_load_dwordx2 v[34:35], v43, s[0:1]
	global_load_dwordx2 v[38:39], v44, s[0:1] offset:2048
	v_fmac_f32_e32 v58, 0xbf5db3d7, v57
	v_mul_f32_e32 v43, v58, v42
	v_lshlrev_b32_sdwa v57, v6, v1 dst_sel:DWORD dst_unused:UNUSED_PAD src0_sel:DWORD src1_sel:BYTE_0
	v_fma_f32 v43, v47, v54, -v43
	v_mul_f32_e32 v42, v47, v42
	v_lshlrev_b32_sdwa v1, v6, v1 dst_sel:DWORD dst_unused:UNUSED_PAD src0_sel:DWORD src1_sel:BYTE_1
	global_load_dwordx2 v[44:45], v57, s[0:1]
	global_load_dwordx2 v[46:47], v1, s[0:1] offset:2048
	v_add_f32_e32 v1, v51, v48
	v_add_f32_e32 v48, v50, v55
	v_add_f32_e32 v48, v48, v56
	v_add_f32_e32 v1, v1, v49
	v_fmac_f32_e32 v42, v58, v54
	s_waitcnt vmcnt(7)
	v_mul_f32_e32 v6, v12, v16
	v_fma_f32 v6, v11, v15, -v6
	v_mul_f32_e32 v11, v11, v16
	v_fmac_f32_e32 v11, v12, v15
	v_mul_f32_e32 v12, v48, v11
	v_fma_f32 v12, v1, v6, -v12
	v_mul_f32_e32 v11, v1, v11
	v_fmac_f32_e32 v11, v48, v6
	s_waitcnt vmcnt(6)
	v_mul_f32_e32 v1, v8, v13
	v_fma_f32 v1, v7, v14, -v1
	v_mul_f32_e32 v6, v10, v17
	v_mul_f32_e32 v14, v8, v14
	;; [unrolled: 1-line block ×3, first 2 shown]
	v_fmac_f32_e32 v14, v7, v13
	v_fmac_f32_e32 v10, v9, v17
	v_fma_f32 v15, v9, v18, -v6
	v_add_f32_e32 v6, v1, v15
	v_fma_f32 v16, -0.5, v6, v53
	v_sub_f32_e32 v13, v1, v15
	s_waitcnt vmcnt(4)
	v_mul_f32_e32 v7, v26, v33
	v_fma_f32 v9, v25, v32, -v7
	v_add_f32_e32 v7, v14, v10
	v_fma_f32 v17, -0.5, v7, v52
	v_mov_b32_e32 v18, v17
	v_mul_f32_e32 v25, v25, v33
	v_sub_f32_e32 v8, v14, v10
	v_mov_b32_e32 v6, v16
	v_fmac_f32_e32 v18, 0x3f5db3d7, v13
	v_fmac_f32_e32 v25, v26, v32
	;; [unrolled: 1-line block ×3, first 2 shown]
	v_mul_f32_e32 v7, v18, v25
	v_fma_f32 v7, v6, v9, -v7
	v_mul_f32_e32 v6, v6, v25
	v_fmac_f32_e32 v16, 0x3f5db3d7, v8
	s_waitcnt vmcnt(2)
	v_mul_f32_e32 v8, v35, v39
	v_fmac_f32_e32 v6, v18, v9
	v_fma_f32 v18, v34, v38, -v8
	v_mul_f32_e32 v8, v34, v39
	v_add_f32_e32 v1, v53, v1
	v_fmac_f32_e32 v17, 0xbf5db3d7, v13
	v_fmac_f32_e32 v8, v35, v38
	v_add_f32_e32 v13, v1, v15
	s_waitcnt vmcnt(0)
	v_mul_f32_e32 v1, v45, v47
	v_mul_f32_e32 v9, v17, v8
	v_fma_f32 v34, v44, v46, -v1
	v_add_f32_e32 v1, v52, v14
	v_mul_f32_e32 v35, v44, v47
	v_fma_f32 v9, v16, v18, -v9
	v_mul_f32_e32 v8, v16, v8
	v_add_f32_e32 v10, v1, v10
	v_fmac_f32_e32 v35, v45, v46
	v_mad_u64_u32 v[15:16], s[0:1], s8, v28, 0
	v_mul_f32_e32 v1, v10, v35
	s_movk_i32 s0, 0x3ef
	v_fma_f32 v14, v13, v34, -v1
	v_mov_b32_e32 v1, 0xd8
	v_cmp_lt_u32_e32 vcc, s0, v0
	v_cndmask_b32_e32 v1, 0, v1, vcc
	v_add_u32_e32 v30, v30, v1
	v_fmac_f32_e32 v8, v17, v18
	v_mad_u64_u32 v[17:18], s[0:1], s12, v30, 0
	v_mov_b32_e32 v1, v16
	v_mad_u64_u32 v[25:26], s[0:1], s9, v28, v[1:2]
	v_mov_b32_e32 v1, v18
	v_mad_u64_u32 v[32:33], s[0:1], s13, v30, v[1:2]
	s_lshl_b64 s[0:1], s[2:3], 3
	v_mul_f32_e32 v13, v13, v35
	s_add_u32 s2, s14, s0
	v_fmac_f32_e32 v13, v10, v34
	v_mov_b32_e32 v16, v25
	s_addc_u32 s0, s15, s1
	v_add_u32_e32 v10, 0x48, v30
	v_lshlrev_b64 v[15:16], 3, v[15:16]
	v_mov_b32_e32 v1, s0
	v_mad_u64_u32 v[25:26], s[0:1], s12, v10, 0
	v_mov_b32_e32 v18, v32
	v_add_co_u32_e32 v28, vcc, s2, v15
	v_addc_co_u32_e32 v32, vcc, v1, v16, vcc
	v_lshlrev_b64 v[15:16], 3, v[17:18]
	v_mov_b32_e32 v1, v26
	v_mad_u64_u32 v[17:18], s[0:1], s13, v10, v[1:2]
	v_add_co_u32_e32 v15, vcc, v28, v15
	v_addc_co_u32_e32 v16, vcc, v32, v16, vcc
	v_add_u32_e32 v10, 0x90, v30
	global_store_dwordx2 v[15:16], v[13:14], off
	v_mad_u64_u32 v[15:16], s[0:1], s12, v10, 0
	v_mov_b32_e32 v26, v17
	v_lshlrev_b64 v[13:14], 3, v[25:26]
	v_mov_b32_e32 v1, v16
	v_add_co_u32_e32 v13, vcc, v28, v13
	v_mad_u64_u32 v[16:17], s[0:1], s13, v10, v[1:2]
	v_addc_co_u32_e32 v14, vcc, v32, v14, vcc
	s_movk_i32 s0, 0x2f3
	v_mov_b32_e32 v25, 0x90
	v_cmp_lt_u32_e32 vcc, s0, v0
	v_cndmask_b32_e32 v1, 0, v25, vcc
	v_add_u32_e32 v26, v31, v1
	v_mad_u64_u32 v[17:18], s[0:1], s12, v26, 0
	global_store_dwordx2 v[13:14], v[8:9], off
	v_lshlrev_b64 v[8:9], 3, v[15:16]
	v_add_u32_e32 v10, 0x48, v26
	v_add_co_u32_e32 v8, vcc, v28, v8
	v_addc_co_u32_e32 v9, vcc, v32, v9, vcc
	v_mov_b32_e32 v1, v18
	global_store_dwordx2 v[8:9], v[6:7], off
	v_mad_u64_u32 v[8:9], s[0:1], s12, v10, 0
	v_mad_u64_u32 v[13:14], s[0:1], s13, v26, v[1:2]
	v_mov_b32_e32 v1, v9
	v_mad_u64_u32 v[9:10], s[0:1], s13, v10, v[1:2]
	v_mov_b32_e32 v18, v13
	v_lshlrev_b64 v[6:7], 3, v[17:18]
	v_add_u32_e32 v10, 0x90, v26
	v_mad_u64_u32 v[13:14], s[0:1], s12, v10, 0
	v_add_co_u32_e32 v6, vcc, v28, v6
	v_addc_co_u32_e32 v7, vcc, v32, v7, vcc
	global_store_dwordx2 v[6:7], v[11:12], off
	v_lshlrev_b64 v[6:7], 3, v[8:9]
	v_mov_b32_e32 v1, v14
	v_mad_u64_u32 v[8:9], s[0:1], s13, v10, v[1:2]
	v_add_co_u32_e32 v6, vcc, v28, v6
	v_addc_co_u32_e32 v7, vcc, v32, v7, vcc
	s_movk_i32 s0, 0x1f7
	v_cmp_lt_u32_e32 vcc, s0, v0
	v_cndmask_b32_e32 v1, 0, v25, vcc
	v_add_u32_e32 v12, v27, v1
	v_mov_b32_e32 v14, v8
	v_mad_u64_u32 v[8:9], s[0:1], s12, v12, 0
	global_store_dwordx2 v[6:7], v[42:43], off
	v_lshlrev_b64 v[6:7], 3, v[13:14]
	v_mov_b32_e32 v1, v9
	v_mad_u64_u32 v[9:10], s[0:1], s13, v12, v[1:2]
	v_add_u32_e32 v13, 0x48, v12
	v_mad_u64_u32 v[10:11], s[0:1], s12, v13, 0
	v_add_co_u32_e32 v6, vcc, v28, v6
	v_addc_co_u32_e32 v7, vcc, v32, v7, vcc
	v_mov_b32_e32 v1, v11
	global_store_dwordx2 v[6:7], v[19:20], off
	v_lshlrev_b64 v[6:7], 3, v[8:9]
	v_mad_u64_u32 v[8:9], s[0:1], s13, v13, v[1:2]
	v_add_co_u32_e32 v6, vcc, v28, v6
	v_addc_co_u32_e32 v7, vcc, v32, v7, vcc
	v_mov_b32_e32 v11, v8
	global_store_dwordx2 v[6:7], v[36:37], off
	v_lshlrev_b64 v[6:7], 3, v[10:11]
	v_add_u32_e32 v10, 0x90, v12
	v_mad_u64_u32 v[8:9], s[0:1], s12, v10, 0
	v_add_co_u32_e32 v6, vcc, v28, v6
	v_mov_b32_e32 v1, v9
	v_mad_u64_u32 v[9:10], s[0:1], s13, v10, v[1:2]
	v_addc_co_u32_e32 v7, vcc, v32, v7, vcc
	s_movk_i32 s0, 0xfb
	v_cmp_lt_u32_e32 vcc, s0, v0
	v_cndmask_b32_e32 v0, 0, v25, vcc
	v_add_u32_e32 v10, v29, v0
	v_mad_u64_u32 v[0:1], s[0:1], s12, v10, 0
	global_store_dwordx2 v[6:7], v[23:24], off
	v_lshlrev_b64 v[6:7], 3, v[8:9]
	v_mad_u64_u32 v[8:9], s[0:1], s13, v10, v[1:2]
	v_add_co_u32_e32 v6, vcc, v28, v6
	v_addc_co_u32_e32 v7, vcc, v32, v7, vcc
	v_mov_b32_e32 v1, v8
	v_add_u32_e32 v8, 0x48, v10
	global_store_dwordx2 v[6:7], v[21:22], off
	v_mad_u64_u32 v[6:7], s[0:1], s12, v8, 0
	v_add_u32_e32 v10, 0x90, v10
	v_lshlrev_b64 v[0:1], 3, v[0:1]
	v_mad_u64_u32 v[7:8], s[0:1], s13, v8, v[7:8]
	v_mad_u64_u32 v[8:9], s[0:1], s12, v10, 0
	v_add_co_u32_e32 v0, vcc, v28, v0
	v_addc_co_u32_e32 v1, vcc, v32, v1, vcc
	global_store_dwordx2 v[0:1], v[40:41], off
	v_lshlrev_b64 v[0:1], 3, v[6:7]
	v_mov_b32_e32 v6, v9
	v_mad_u64_u32 v[6:7], s[0:1], s13, v10, v[6:7]
	v_add_co_u32_e32 v0, vcc, v28, v0
	v_addc_co_u32_e32 v1, vcc, v32, v1, vcc
	v_mov_b32_e32 v9, v6
	global_store_dwordx2 v[0:1], v[4:5], off
	v_lshlrev_b64 v[0:1], 3, v[8:9]
	v_add_co_u32_e32 v0, vcc, v28, v0
	v_addc_co_u32_e32 v1, vcc, v32, v1, vcc
	global_store_dwordx2 v[0:1], v[2:3], off
.LBB0_12:
	s_endpgm
	.section	.rodata,"a",@progbits
	.p2align	6, 0x0
	.amdhsa_kernel fft_rtc_back_len216_factors_6_4_3_3_wgs_252_tpt_18_dim2_sp_ip_CI_sbcc_twdbase8_2step_dirReg
		.amdhsa_group_segment_fixed_size 0
		.amdhsa_private_segment_fixed_size 0
		.amdhsa_kernarg_size 88
		.amdhsa_user_sgpr_count 6
		.amdhsa_user_sgpr_private_segment_buffer 1
		.amdhsa_user_sgpr_dispatch_ptr 0
		.amdhsa_user_sgpr_queue_ptr 0
		.amdhsa_user_sgpr_kernarg_segment_ptr 1
		.amdhsa_user_sgpr_dispatch_id 0
		.amdhsa_user_sgpr_flat_scratch_init 0
		.amdhsa_user_sgpr_private_segment_size 0
		.amdhsa_uses_dynamic_stack 0
		.amdhsa_system_sgpr_private_segment_wavefront_offset 0
		.amdhsa_system_sgpr_workgroup_id_x 1
		.amdhsa_system_sgpr_workgroup_id_y 0
		.amdhsa_system_sgpr_workgroup_id_z 0
		.amdhsa_system_sgpr_workgroup_info 0
		.amdhsa_system_vgpr_workitem_id 0
		.amdhsa_next_free_vgpr 61
		.amdhsa_next_free_sgpr 24
		.amdhsa_reserve_vcc 1
		.amdhsa_reserve_flat_scratch 0
		.amdhsa_float_round_mode_32 0
		.amdhsa_float_round_mode_16_64 0
		.amdhsa_float_denorm_mode_32 3
		.amdhsa_float_denorm_mode_16_64 3
		.amdhsa_dx10_clamp 1
		.amdhsa_ieee_mode 1
		.amdhsa_fp16_overflow 0
		.amdhsa_exception_fp_ieee_invalid_op 0
		.amdhsa_exception_fp_denorm_src 0
		.amdhsa_exception_fp_ieee_div_zero 0
		.amdhsa_exception_fp_ieee_overflow 0
		.amdhsa_exception_fp_ieee_underflow 0
		.amdhsa_exception_fp_ieee_inexact 0
		.amdhsa_exception_int_div_zero 0
	.end_amdhsa_kernel
	.text
.Lfunc_end0:
	.size	fft_rtc_back_len216_factors_6_4_3_3_wgs_252_tpt_18_dim2_sp_ip_CI_sbcc_twdbase8_2step_dirReg, .Lfunc_end0-fft_rtc_back_len216_factors_6_4_3_3_wgs_252_tpt_18_dim2_sp_ip_CI_sbcc_twdbase8_2step_dirReg
                                        ; -- End function
	.section	.AMDGPU.csdata,"",@progbits
; Kernel info:
; codeLenInByte = 7256
; NumSgprs: 28
; NumVgprs: 61
; ScratchSize: 0
; MemoryBound: 0
; FloatMode: 240
; IeeeMode: 1
; LDSByteSize: 0 bytes/workgroup (compile time only)
; SGPRBlocks: 3
; VGPRBlocks: 15
; NumSGPRsForWavesPerEU: 28
; NumVGPRsForWavesPerEU: 61
; Occupancy: 4
; WaveLimiterHint : 1
; COMPUTE_PGM_RSRC2:SCRATCH_EN: 0
; COMPUTE_PGM_RSRC2:USER_SGPR: 6
; COMPUTE_PGM_RSRC2:TRAP_HANDLER: 0
; COMPUTE_PGM_RSRC2:TGID_X_EN: 1
; COMPUTE_PGM_RSRC2:TGID_Y_EN: 0
; COMPUTE_PGM_RSRC2:TGID_Z_EN: 0
; COMPUTE_PGM_RSRC2:TIDIG_COMP_CNT: 0
	.type	__hip_cuid_380087be9377849,@object ; @__hip_cuid_380087be9377849
	.section	.bss,"aw",@nobits
	.globl	__hip_cuid_380087be9377849
__hip_cuid_380087be9377849:
	.byte	0                               ; 0x0
	.size	__hip_cuid_380087be9377849, 1

	.ident	"AMD clang version 19.0.0git (https://github.com/RadeonOpenCompute/llvm-project roc-6.4.0 25133 c7fe45cf4b819c5991fe208aaa96edf142730f1d)"
	.section	".note.GNU-stack","",@progbits
	.addrsig
	.addrsig_sym __hip_cuid_380087be9377849
	.amdgpu_metadata
---
amdhsa.kernels:
  - .args:
      - .actual_access:  read_only
        .address_space:  global
        .offset:         0
        .size:           8
        .value_kind:     global_buffer
      - .address_space:  global
        .offset:         8
        .size:           8
        .value_kind:     global_buffer
      - .actual_access:  read_only
        .address_space:  global
        .offset:         16
        .size:           8
        .value_kind:     global_buffer
      - .actual_access:  read_only
        .address_space:  global
        .offset:         24
        .size:           8
        .value_kind:     global_buffer
      - .offset:         32
        .size:           8
        .value_kind:     by_value
      - .actual_access:  read_only
        .address_space:  global
        .offset:         40
        .size:           8
        .value_kind:     global_buffer
      - .actual_access:  read_only
        .address_space:  global
        .offset:         48
        .size:           8
        .value_kind:     global_buffer
      - .offset:         56
        .size:           4
        .value_kind:     by_value
      - .actual_access:  read_only
        .address_space:  global
        .offset:         64
        .size:           8
        .value_kind:     global_buffer
      - .actual_access:  read_only
        .address_space:  global
        .offset:         72
        .size:           8
        .value_kind:     global_buffer
      - .address_space:  global
        .offset:         80
        .size:           8
        .value_kind:     global_buffer
    .group_segment_fixed_size: 0
    .kernarg_segment_align: 8
    .kernarg_segment_size: 88
    .language:       OpenCL C
    .language_version:
      - 2
      - 0
    .max_flat_workgroup_size: 252
    .name:           fft_rtc_back_len216_factors_6_4_3_3_wgs_252_tpt_18_dim2_sp_ip_CI_sbcc_twdbase8_2step_dirReg
    .private_segment_fixed_size: 0
    .sgpr_count:     28
    .sgpr_spill_count: 0
    .symbol:         fft_rtc_back_len216_factors_6_4_3_3_wgs_252_tpt_18_dim2_sp_ip_CI_sbcc_twdbase8_2step_dirReg.kd
    .uniform_work_group_size: 1
    .uses_dynamic_stack: false
    .vgpr_count:     61
    .vgpr_spill_count: 0
    .wavefront_size: 64
amdhsa.target:   amdgcn-amd-amdhsa--gfx906
amdhsa.version:
  - 1
  - 2
...

	.end_amdgpu_metadata
